;; amdgpu-corpus repo=ROCm/rocFFT kind=compiled arch=gfx906 opt=O3
	.text
	.amdgcn_target "amdgcn-amd-amdhsa--gfx906"
	.amdhsa_code_object_version 6
	.protected	fft_rtc_fwd_len55_factors_5_11_wgs_132_tpt_11_halfLds_dim1_dp_ip_CI_sbrr_dirReg ; -- Begin function fft_rtc_fwd_len55_factors_5_11_wgs_132_tpt_11_halfLds_dim1_dp_ip_CI_sbrr_dirReg
	.globl	fft_rtc_fwd_len55_factors_5_11_wgs_132_tpt_11_halfLds_dim1_dp_ip_CI_sbrr_dirReg
	.p2align	8
	.type	fft_rtc_fwd_len55_factors_5_11_wgs_132_tpt_11_halfLds_dim1_dp_ip_CI_sbrr_dirReg,@function
fft_rtc_fwd_len55_factors_5_11_wgs_132_tpt_11_halfLds_dim1_dp_ip_CI_sbrr_dirReg: ; @fft_rtc_fwd_len55_factors_5_11_wgs_132_tpt_11_halfLds_dim1_dp_ip_CI_sbrr_dirReg
; %bb.0:
	s_load_dwordx4 s[12:15], s[4:5], 0x10
	v_mul_u32_u24_e32 v1, 0x1746, v0
	v_lshrrev_b32_e32 v1, 16, v1
	v_mad_u64_u32 v[4:5], s[0:1], s6, 12, v[1:2]
	s_load_dwordx2 s[2:3], s[4:5], 0x48
	s_waitcnt lgkmcnt(0)
	s_load_dwordx4 s[8:11], s[12:13], 0x0
	v_mov_b32_e32 v5, 0
	v_cmp_gt_u64_e32 vcc, s[14:15], v[4:5]
	v_mul_lo_u16_e32 v1, 11, v1
	v_sub_u16_e32 v98, v0, v1
	s_waitcnt lgkmcnt(0)
	v_mad_u64_u32 v[2:3], s[0:1], s10, v4, 0
                                        ; implicit-def: $vgpr18_vgpr19
                                        ; implicit-def: $vgpr22_vgpr23
                                        ; implicit-def: $vgpr30_vgpr31
                                        ; implicit-def: $vgpr26_vgpr27
                                        ; implicit-def: $vgpr34_vgpr35
	v_mad_u64_u32 v[6:7], s[0:1], s11, v4, v[3:4]
	v_mov_b32_e32 v3, v6
	v_lshlrev_b64 v[36:37], 4, v[2:3]
	s_and_saveexec_b64 s[6:7], vcc
	s_cbranch_execz .LBB0_2
; %bb.1:
	v_mad_u64_u32 v[0:1], s[0:1], s8, v98, 0
	v_add_u32_e32 v6, 11, v98
	v_mov_b32_e32 v5, s3
	v_mad_u64_u32 v[1:2], s[0:1], s9, v98, v[1:2]
	v_mad_u64_u32 v[2:3], s[0:1], s8, v6, 0
	v_add_co_u32_e64 v13, s[0:1], s2, v36
	v_addc_co_u32_e64 v14, s[0:1], v5, v37, s[0:1]
	v_mad_u64_u32 v[5:6], s[0:1], s9, v6, v[3:4]
	v_add_u32_e32 v8, 22, v98
	v_mad_u64_u32 v[6:7], s[0:1], s8, v8, 0
	v_lshlrev_b64 v[0:1], 4, v[0:1]
	v_mov_b32_e32 v3, v5
	v_add_co_u32_e64 v0, s[0:1], v13, v0
	v_mov_b32_e32 v5, v7
	v_addc_co_u32_e64 v1, s[0:1], v14, v1, s[0:1]
	v_mad_u64_u32 v[7:8], s[0:1], s9, v8, v[5:6]
	v_add_u32_e32 v10, 33, v98
	v_mad_u64_u32 v[8:9], s[0:1], s8, v10, 0
	v_lshlrev_b64 v[2:3], 4, v[2:3]
	v_lshlrev_b64 v[5:6], 4, v[6:7]
	v_add_co_u32_e64 v2, s[0:1], v13, v2
	v_mov_b32_e32 v7, v9
	v_addc_co_u32_e64 v3, s[0:1], v14, v3, s[0:1]
	v_mad_u64_u32 v[9:10], s[0:1], s9, v10, v[7:8]
	v_add_u32_e32 v12, 44, v98
	v_mad_u64_u32 v[10:11], s[0:1], s8, v12, 0
	v_add_co_u32_e64 v5, s[0:1], v13, v5
	v_lshlrev_b64 v[7:8], 4, v[8:9]
	v_mov_b32_e32 v9, v11
	v_addc_co_u32_e64 v6, s[0:1], v14, v6, s[0:1]
	v_mad_u64_u32 v[11:12], s[0:1], s9, v12, v[9:10]
	v_add_co_u32_e64 v7, s[0:1], v13, v7
	global_load_dwordx4 v[32:35], v[0:1], off
	global_load_dwordx4 v[24:27], v[2:3], off
	v_lshlrev_b64 v[0:1], 4, v[10:11]
	v_addc_co_u32_e64 v8, s[0:1], v14, v8, s[0:1]
	v_add_co_u32_e64 v0, s[0:1], v13, v0
	v_addc_co_u32_e64 v1, s[0:1], v14, v1, s[0:1]
	global_load_dwordx4 v[28:31], v[5:6], off
	global_load_dwordx4 v[20:23], v[7:8], off
	;; [unrolled: 1-line block ×3, first 2 shown]
.LBB0_2:
	s_or_b64 exec, exec, s[6:7]
	s_waitcnt vmcnt(2)
	v_add_f64 v[0:1], v[28:29], -v[24:25]
	s_waitcnt vmcnt(0)
	v_add_f64 v[2:3], v[20:21], -v[16:17]
	v_add_f64 v[5:6], v[20:21], v[28:29]
	v_add_f64 v[7:8], v[16:17], v[24:25]
	s_mov_b32 s0, 0xaaaaaaab
	v_mul_hi_u32 v9, v4, s0
	v_add_f64 v[11:12], v[24:25], v[32:33]
	s_mov_b32 s6, 0x134454ff
	s_mov_b32 s7, 0x3fee6f0e
	v_lshrrev_b32_e32 v15, 3, v9
	v_add_f64 v[0:1], v[2:3], v[0:1]
	v_fma_f64 v[2:3], v[5:6], -0.5, v[32:33]
	v_fma_f64 v[5:6], v[7:8], -0.5, v[32:33]
	v_add_f64 v[7:8], v[30:31], -v[22:23]
	v_add_f64 v[9:10], v[26:27], -v[18:19]
	s_mov_b32 s13, 0xbfee6f0e
	s_mov_b32 s12, s6
	v_add_f64 v[32:33], v[24:25], -v[28:29]
	v_add_f64 v[38:39], v[16:17], -v[20:21]
	v_add_f64 v[11:12], v[28:29], v[11:12]
	s_mov_b32 s10, 0x4755a5e
	v_fma_f64 v[13:14], v[7:8], s[12:13], v[5:6]
	v_fma_f64 v[40:41], v[9:10], s[6:7], v[2:3]
	;; [unrolled: 1-line block ×4, first 2 shown]
	s_mov_b32 s11, 0x3fe2cf23
	s_mov_b32 s15, 0xbfe2cf23
	;; [unrolled: 1-line block ×3, first 2 shown]
	v_add_f64 v[38:39], v[38:39], v[32:33]
	v_fma_f64 v[13:14], v[9:10], s[10:11], v[13:14]
	v_add_f64 v[11:12], v[20:21], v[11:12]
	v_fma_f64 v[40:41], v[7:8], s[10:11], v[40:41]
	v_fma_f64 v[5:6], v[9:10], s[14:15], v[5:6]
	;; [unrolled: 1-line block ×3, first 2 shown]
	s_mov_b32 s16, 0x372fe950
	s_mov_b32 s17, 0x3fd3c6ef
	v_mul_lo_u32 v7, v15, 12
	v_fma_f64 v[42:43], v[0:1], s[16:17], v[13:14]
	v_add_f64 v[32:33], v[16:17], v[11:12]
	v_fma_f64 v[48:49], v[38:39], s[16:17], v[40:41]
	v_fma_f64 v[0:1], v[0:1], s[16:17], v[5:6]
	;; [unrolled: 1-line block ×3, first 2 shown]
	v_sub_u32_e32 v4, v4, v7
	v_mul_u32_u24_e32 v5, 55, v4
	v_mad_u32_u24 v4, v98, 40, 0
	v_lshl_add_u32 v46, v5, 3, v4
	v_cmp_gt_u16_e64 s[0:1], 5, v98
	v_lshlrev_b32_e32 v44, 3, v5
	v_lshlrev_b32_e32 v45, 3, v98
	ds_write2_b64 v46, v[32:33], v[48:49] offset1:1
	ds_write2_b64 v46, v[42:43], v[0:1] offset0:2 offset1:3
	ds_write_b64 v46, v[2:3] offset:32
	s_waitcnt lgkmcnt(0)
	s_barrier
	s_waitcnt lgkmcnt(0)
                                        ; implicit-def: $vgpr10_vgpr11
                                        ; implicit-def: $vgpr6_vgpr7
                                        ; implicit-def: $vgpr14_vgpr15
	s_and_saveexec_b64 s[18:19], s[0:1]
	s_cbranch_execz .LBB0_4
; %bb.3:
	v_add3_u32 v0, 0, v44, v45
	ds_read_b64 v[32:33], v0
	v_lshlrev_b32_e32 v0, 5, v98
	v_sub_u32_e32 v0, v4, v0
	v_add_u32_e32 v8, v0, v44
	ds_read2_b64 v[38:41], v8 offset0:5 offset1:10
	ds_read2_b64 v[0:3], v8 offset0:15 offset1:20
	;; [unrolled: 1-line block ×5, first 2 shown]
	s_waitcnt lgkmcnt(4)
	v_mov_b32_e32 v43, v41
	v_mov_b32_e32 v49, v39
	;; [unrolled: 1-line block ×4, first 2 shown]
.LBB0_4:
	s_or_b64 exec, exec, s[18:19]
	v_add_f64 v[38:39], v[22:23], v[30:31]
	v_add_f64 v[40:41], v[18:19], v[26:27]
	;; [unrolled: 1-line block ×3, first 2 shown]
	v_add_f64 v[16:17], v[24:25], -v[16:17]
	v_add_f64 v[20:21], v[28:29], -v[20:21]
	s_waitcnt lgkmcnt(0)
	s_barrier
	v_fma_f64 v[24:25], v[38:39], -0.5, v[34:35]
	v_fma_f64 v[28:29], v[40:41], -0.5, v[34:35]
	v_add_f64 v[34:35], v[26:27], -v[30:31]
	v_add_f64 v[38:39], v[18:19], -v[22:23]
	;; [unrolled: 1-line block ×4, first 2 shown]
	v_add_f64 v[30:31], v[30:31], v[50:51]
	v_fma_f64 v[50:51], v[16:17], s[12:13], v[24:25]
	v_fma_f64 v[52:53], v[20:21], s[6:7], v[28:29]
	;; [unrolled: 1-line block ×4, first 2 shown]
	v_add_f64 v[54:55], v[38:39], v[34:35]
	v_add_f64 v[26:27], v[40:41], v[26:27]
	;; [unrolled: 1-line block ×3, first 2 shown]
	v_fma_f64 v[30:31], v[20:21], s[14:15], v[50:51]
	v_fma_f64 v[40:41], v[16:17], s[14:15], v[52:53]
	;; [unrolled: 1-line block ×4, first 2 shown]
	v_add_f64 v[34:35], v[18:19], v[22:23]
                                        ; implicit-def: $vgpr22_vgpr23
	v_fma_f64 v[38:39], v[54:55], s[16:17], v[30:31]
	v_fma_f64 v[16:17], v[26:27], s[16:17], v[40:41]
	;; [unrolled: 1-line block ×4, first 2 shown]
                                        ; implicit-def: $vgpr26_vgpr27
                                        ; implicit-def: $vgpr30_vgpr31
	ds_write2_b64 v46, v[34:35], v[38:39] offset1:1
	ds_write2_b64 v46, v[16:17], v[40:41] offset0:2 offset1:3
	ds_write_b64 v46, v[18:19] offset:32
	s_waitcnt lgkmcnt(0)
	s_barrier
	s_and_saveexec_b64 s[6:7], s[0:1]
	s_cbranch_execnz .LBB0_7
; %bb.5:
	s_or_b64 exec, exec, s[6:7]
	s_and_b64 s[0:1], vcc, s[0:1]
	s_and_saveexec_b64 s[6:7], s[0:1]
	s_cbranch_execnz .LBB0_8
.LBB0_6:
	s_endpgm
.LBB0_7:
	v_add3_u32 v16, 0, v44, v45
	v_add3_u32 v20, 0, v45, v44
	ds_read_b64 v[34:35], v16
	ds_read2_b64 v[44:47], v20 offset0:5 offset1:10
	ds_read2_b64 v[16:19], v20 offset0:15 offset1:20
	;; [unrolled: 1-line block ×5, first 2 shown]
	s_waitcnt lgkmcnt(4)
	v_mov_b32_e32 v38, v44
	s_waitcnt lgkmcnt(3)
	v_mov_b32_e32 v41, v17
	v_mov_b32_e32 v40, v16
	;; [unrolled: 1-line block ×5, first 2 shown]
	s_or_b64 exec, exec, s[6:7]
	s_and_b64 s[0:1], vcc, s[0:1]
	s_and_saveexec_b64 s[6:7], s[0:1]
	s_cbranch_execz .LBB0_6
.LBB0_8:
	s_load_dwordx2 s[0:1], s[4:5], 0x0
	s_movk_i32 s4, 0xcd
	v_mul_lo_u16_sdwa v44, v98, s4 dst_sel:DWORD dst_unused:UNUSED_PAD src0_sel:BYTE_0 src1_sel:DWORD
	v_lshrrev_b16_e32 v44, 10, v44
	v_mul_lo_u16_e32 v44, 5, v44
	v_sub_u16_e32 v44, v98, v44
	v_mul_lo_u16_e32 v44, 10, v44
	v_and_b32_e32 v44, 0xfe, v44
	v_lshlrev_b32_e32 v78, 4, v44
	s_waitcnt lgkmcnt(0)
	global_load_dwordx4 v[44:47], v78, s[0:1] offset:64
	global_load_dwordx4 v[50:53], v78, s[0:1] offset:80
	;; [unrolled: 1-line block ×6, first 2 shown]
	global_load_dwordx4 v[70:73], v78, s[0:1]
	global_load_dwordx4 v[74:77], v78, s[0:1] offset:128
	global_load_dwordx4 v[84:87], v78, s[0:1] offset:144
	;; [unrolled: 1-line block ×3, first 2 shown]
	s_mov_b32 s0, 0x9bcd5057
	s_mov_b32 s4, 0xfd768dbf
	s_mov_b32 s1, 0xbfeeb42a
	s_mov_b32 s5, 0x3fd207e7
	s_mov_b32 s13, 0xbfd207e7
	s_mov_b32 s12, s4
	s_mov_b32 s6, 0x8764f0ba
	s_mov_b32 s10, 0xf8bb580b
	s_mov_b32 s7, 0x3feaeb8c
	s_mov_b32 s11, 0xbfe14ced
	s_mov_b32 s19, 0x3fe14ced
	s_mov_b32 s18, s10
	s_mov_b32 s14, 0x7f775887
	s_mov_b32 s24, 0xbb3a28a1
	s_mov_b32 s15, 0xbfe4f49e
	s_mov_b32 s25, 0x3fe82f19
	s_mov_b32 s17, 0xbfe82f19
	s_mov_b32 s16, s24
	s_mov_b32 s20, 0xd9c712b6
	s_mov_b32 s22, 0x8eee2c13
	s_mov_b32 s21, 0x3fda9628
	s_mov_b32 s23, 0xbfed1bb4
	s_mov_b32 s35, 0x3fed1bb4
	s_mov_b32 s34, s22
	s_mov_b32 s26, 0x640f44db
	s_mov_b32 s30, 0x43842ef
	s_mov_b32 s27, 0xbfc2375f
	s_mov_b32 s31, 0x3fefac9e
	s_mov_b32 s29, 0xbfefac9e
	s_mov_b32 s28, s30
	s_waitcnt vmcnt(9)
	v_mul_f64 v[78:79], v[28:29], v[44:45]
	v_mul_f64 v[28:29], v[28:29], v[46:47]
	s_waitcnt vmcnt(8)
	v_mul_f64 v[82:83], v[30:31], v[52:53]
	v_mul_f64 v[80:81], v[30:31], v[50:51]
	;; [unrolled: 3-line block ×5, first 2 shown]
	v_mul_f64 v[101:102], v[40:41], v[66:67]
	v_mul_f64 v[103:104], v[40:41], v[68:69]
	v_mul_f64 v[107:108], v[38:39], v[72:73]
	v_mul_f64 v[109:110], v[20:21], v[74:75]
	v_mul_f64 v[115:116], v[22:23], v[86:87]
	s_waitcnt vmcnt(0)
	v_mul_f64 v[117:118], v[16:17], v[88:89]
	v_fma_f64 v[40:41], v[12:13], v[46:47], v[78:79]
	v_fma_f64 v[38:39], v[12:13], v[44:45], -v[28:29]
	v_fma_f64 v[26:27], v[14:15], v[50:51], -v[82:83]
	v_fma_f64 v[82:83], v[48:49], v[72:73], v[105:106]
	v_fma_f64 v[12:13], v[10:11], v[86:87], v[113:114]
	v_mul_f64 v[94:95], v[24:25], v[58:59]
	v_mul_f64 v[111:112], v[20:21], v[76:77]
	;; [unrolled: 1-line block ×3, first 2 shown]
	v_fma_f64 v[30:31], v[14:15], v[52:53], v[80:81]
	v_fma_f64 v[46:47], v[2:3], v[56:57], v[92:93]
	v_fma_f64 v[44:45], v[2:3], v[54:55], -v[18:19]
	v_fma_f64 v[80:81], v[48:49], v[70:71], -v[107:108]
	v_fma_f64 v[18:19], v[8:9], v[76:77], v[109:110]
	v_fma_f64 v[14:15], v[10:11], v[84:85], -v[115:116]
	v_fma_f64 v[78:79], v[42:43], v[90:91], v[117:118]
	v_fma_f64 v[28:29], v[6:7], v[64:65], v[96:97]
	v_add_f64 v[96:97], v[82:83], v[12:13]
	v_add_f64 v[92:93], v[82:83], -v[12:13]
	v_mul_f64 v[24:25], v[24:25], v[60:61]
	v_fma_f64 v[22:23], v[4:5], v[60:61], v[94:95]
	v_fma_f64 v[16:17], v[8:9], v[74:75], -v[111:112]
	v_fma_f64 v[74:75], v[42:43], v[88:89], -v[119:120]
	v_fma_f64 v[72:73], v[0:1], v[68:69], v[101:102]
	v_fma_f64 v[70:71], v[0:1], v[66:67], -v[103:104]
	v_add_f64 v[64:65], v[80:81], -v[14:15]
	v_add_f64 v[94:95], v[78:79], v[18:19]
	v_add_f64 v[66:67], v[80:81], v[14:15]
	v_add_f64 v[88:89], v[78:79], -v[18:19]
	v_mul_f64 v[0:1], v[96:97], s[0:1]
	v_mul_f64 v[2:3], v[92:93], s[12:13]
	v_fma_f64 v[20:21], v[4:5], v[58:59], -v[24:25]
	v_fma_f64 v[24:25], v[6:7], v[62:63], -v[99:100]
	v_add_f64 v[58:59], v[74:75], -v[16:17]
	v_add_f64 v[60:61], v[74:75], v[16:17]
	v_add_f64 v[90:91], v[72:73], v[28:29]
	v_add_f64 v[84:85], v[72:73], -v[28:29]
	v_mul_f64 v[4:5], v[94:95], s[6:7]
	v_mul_f64 v[6:7], v[88:89], s[18:19]
	v_fma_f64 v[109:110], v[64:65], s[4:5], v[0:1]
	v_fma_f64 v[111:112], v[66:67], s[0:1], v[2:3]
	v_add_f64 v[54:55], v[70:71], -v[24:25]
	v_add_f64 v[56:57], v[70:71], v[24:25]
	v_add_f64 v[86:87], v[46:47], v[22:23]
	v_add_f64 v[76:77], v[46:47], -v[22:23]
	v_mul_f64 v[8:9], v[90:91], s[14:15]
	v_mul_f64 v[10:11], v[84:85], s[16:17]
	v_fma_f64 v[0:1], v[64:65], s[12:13], v[0:1]
	v_fma_f64 v[117:118], v[58:59], s[10:11], v[4:5]
	v_fma_f64 v[2:3], v[66:67], s[0:1], -v[2:3]
	v_fma_f64 v[119:120], v[60:61], s[6:7], v[6:7]
	v_add_f64 v[109:110], v[34:35], v[109:110]
	v_add_f64 v[111:112], v[32:33], v[111:112]
	v_add_f64 v[48:49], v[44:45], -v[20:21]
	v_add_f64 v[52:53], v[44:45], v[20:21]
	v_add_f64 v[68:69], v[40:41], v[30:31]
	v_add_f64 v[62:63], v[40:41], -v[30:31]
	v_mul_f64 v[99:100], v[86:87], s[20:21]
	v_mul_f64 v[101:102], v[76:77], s[34:35]
	v_fma_f64 v[4:5], v[58:59], s[18:19], v[4:5]
	v_fma_f64 v[6:7], v[60:61], s[6:7], -v[6:7]
	v_fma_f64 v[121:122], v[54:55], s[24:25], v[8:9]
	v_fma_f64 v[123:124], v[56:57], s[14:15], v[10:11]
	v_add_f64 v[0:1], v[34:35], v[0:1]
	v_add_f64 v[109:110], v[117:118], v[109:110]
	;; [unrolled: 1-line block ×4, first 2 shown]
	v_add_f64 v[42:43], v[38:39], -v[26:27]
	v_add_f64 v[50:51], v[38:39], v[26:27]
	v_mul_f64 v[103:104], v[68:69], s[26:27]
	v_mul_f64 v[105:106], v[62:63], s[28:29]
	;; [unrolled: 1-line block ×4, first 2 shown]
	v_fma_f64 v[8:9], v[54:55], s[16:17], v[8:9]
	v_fma_f64 v[117:118], v[48:49], s[22:23], v[99:100]
	;; [unrolled: 1-line block ×3, first 2 shown]
	v_fma_f64 v[10:11], v[56:57], s[14:15], -v[10:11]
	v_add_f64 v[0:1], v[4:5], v[0:1]
	v_add_f64 v[4:5], v[121:122], v[109:110]
	v_add_f64 v[109:110], v[123:124], v[111:112]
	v_add_f64 v[2:3], v[6:7], v[2:3]
	v_mul_f64 v[113:114], v[94:95], s[26:27]
	v_fma_f64 v[125:126], v[42:43], s[30:31], v[103:104]
	v_fma_f64 v[6:7], v[48:49], s[34:35], v[99:100]
	;; [unrolled: 1-line block ×4, first 2 shown]
	v_fma_f64 v[101:102], v[52:53], s[20:21], -v[101:102]
	v_add_f64 v[0:1], v[8:9], v[0:1]
	v_add_f64 v[4:5], v[117:118], v[4:5]
	;; [unrolled: 1-line block ×4, first 2 shown]
	v_fma_f64 v[119:120], v[66:67], s[14:15], v[115:116]
	v_mul_f64 v[121:122], v[88:89], s[30:31]
	v_mul_f64 v[109:110], v[90:91], s[6:7]
	v_fma_f64 v[117:118], v[58:59], s[28:29], v[113:114]
	v_add_f64 v[99:100], v[34:35], v[99:100]
	v_add_f64 v[6:7], v[6:7], v[0:1]
	;; [unrolled: 1-line block ×5, first 2 shown]
	v_fma_f64 v[8:9], v[42:43], s[28:29], v[103:104]
	v_fma_f64 v[10:11], v[50:51], s[26:27], -v[105:106]
	v_add_f64 v[101:102], v[32:33], v[119:120]
	v_fma_f64 v[103:104], v[60:61], s[26:27], v[121:122]
	v_mul_f64 v[105:106], v[84:85], s[10:11]
	v_fma_f64 v[107:108], v[64:65], s[16:17], v[107:108]
	v_add_f64 v[99:100], v[117:118], v[99:100]
	v_fma_f64 v[111:112], v[54:55], s[18:19], v[109:110]
	v_mul_f64 v[117:118], v[86:87], s[0:1]
	v_add_f64 v[6:7], v[8:9], v[6:7]
	v_fma_f64 v[8:9], v[66:67], s[14:15], -v[115:116]
	v_add_f64 v[101:102], v[103:104], v[101:102]
	v_fma_f64 v[103:104], v[56:57], s[6:7], v[105:106]
	v_mul_f64 v[115:116], v[76:77], s[12:13]
	v_fma_f64 v[113:114], v[58:59], s[30:31], v[113:114]
	v_add_f64 v[107:108], v[34:35], v[107:108]
	v_add_f64 v[99:100], v[111:112], v[99:100]
	v_fma_f64 v[111:112], v[48:49], s[4:5], v[117:118]
	v_fma_f64 v[119:120], v[60:61], s[26:27], -v[121:122]
	v_add_f64 v[8:9], v[32:33], v[8:9]
	v_add_f64 v[4:5], v[10:11], v[4:5]
	;; [unrolled: 1-line block ×3, first 2 shown]
	v_fma_f64 v[101:102], v[52:53], s[0:1], v[115:116]
	v_add_f64 v[103:104], v[113:114], v[107:108]
	v_mul_f64 v[107:108], v[68:69], s[20:21]
	v_fma_f64 v[109:110], v[54:55], s[10:11], v[109:110]
	v_add_f64 v[99:100], v[111:112], v[99:100]
	v_add_f64 v[8:9], v[119:120], v[8:9]
	v_fma_f64 v[105:106], v[56:57], s[6:7], -v[105:106]
	v_mul_f64 v[111:112], v[62:63], s[34:35]
	v_mul_f64 v[113:114], v[96:97], s[26:27]
	v_add_f64 v[101:102], v[101:102], v[10:11]
	v_fma_f64 v[10:11], v[42:43], s[22:23], v[107:108]
	v_add_f64 v[103:104], v[109:110], v[103:104]
	v_fma_f64 v[109:110], v[48:49], s[12:13], v[117:118]
	v_mul_f64 v[117:118], v[92:93], s[28:29]
	v_add_f64 v[8:9], v[105:106], v[8:9]
	v_fma_f64 v[105:106], v[52:53], s[0:1], -v[115:116]
	v_fma_f64 v[115:116], v[64:65], s[30:31], v[113:114]
	v_mul_f64 v[119:120], v[94:95], s[0:1]
	v_fma_f64 v[121:122], v[50:51], s[20:21], v[111:112]
	v_add_f64 v[10:11], v[10:11], v[99:100]
	v_add_f64 v[99:100], v[109:110], v[103:104]
	v_fma_f64 v[103:104], v[66:67], s[26:27], v[117:118]
	v_mul_f64 v[109:110], v[88:89], s[4:5]
	v_add_f64 v[105:106], v[105:106], v[8:9]
	v_add_f64 v[115:116], v[34:35], v[115:116]
	v_fma_f64 v[123:124], v[58:59], s[12:13], v[119:120]
	v_mul_f64 v[125:126], v[90:91], s[20:21]
	v_fma_f64 v[107:108], v[42:43], s[34:35], v[107:108]
	v_fma_f64 v[111:112], v[50:51], s[20:21], -v[111:112]
	v_add_f64 v[103:104], v[32:33], v[103:104]
	v_fma_f64 v[127:128], v[60:61], s[0:1], v[109:110]
	v_add_f64 v[8:9], v[121:122], v[101:102]
	v_mul_f64 v[121:122], v[84:85], s[34:35]
	v_add_f64 v[115:116], v[123:124], v[115:116]
	v_fma_f64 v[123:124], v[54:55], s[22:23], v[125:126]
	v_add_f64 v[101:102], v[107:108], v[99:100]
	v_mul_f64 v[107:108], v[86:87], s[6:7]
	v_add_f64 v[99:100], v[111:112], v[105:106]
	v_add_f64 v[103:104], v[127:128], v[103:104]
	v_fma_f64 v[105:106], v[64:65], s[28:29], v[113:114]
	v_fma_f64 v[111:112], v[56:57], s[20:21], v[121:122]
	v_mul_f64 v[113:114], v[76:77], s[10:11]
	v_fma_f64 v[117:118], v[66:67], s[26:27], -v[117:118]
	v_add_f64 v[115:116], v[123:124], v[115:116]
	v_fma_f64 v[123:124], v[48:49], s[18:19], v[107:108]
	v_mul_f64 v[127:128], v[68:69], s[14:15]
	v_fma_f64 v[119:120], v[58:59], s[4:5], v[119:120]
	v_add_f64 v[105:106], v[34:35], v[105:106]
	v_add_f64 v[103:104], v[111:112], v[103:104]
	v_fma_f64 v[111:112], v[52:53], s[6:7], v[113:114]
	v_fma_f64 v[109:110], v[60:61], s[0:1], -v[109:110]
	v_add_f64 v[117:118], v[32:33], v[117:118]
	v_add_f64 v[115:116], v[123:124], v[115:116]
	v_fma_f64 v[123:124], v[42:43], s[24:25], v[127:128]
	v_mul_f64 v[129:130], v[62:63], s[16:17]
	v_add_f64 v[119:120], v[119:120], v[105:106]
	v_fma_f64 v[125:126], v[54:55], s[34:35], v[125:126]
	v_mul_f64 v[131:132], v[96:97], s[20:21]
	v_add_f64 v[103:104], v[111:112], v[103:104]
	v_add_f64 v[109:110], v[109:110], v[117:118]
	v_fma_f64 v[111:112], v[56:57], s[20:21], -v[121:122]
	v_mul_f64 v[117:118], v[92:93], s[22:23]
	v_add_f64 v[105:106], v[123:124], v[115:116]
	v_fma_f64 v[115:116], v[50:51], s[14:15], v[129:130]
	v_add_f64 v[119:120], v[125:126], v[119:120]
	v_fma_f64 v[121:122], v[64:65], s[34:35], v[131:132]
	v_mul_f64 v[123:124], v[94:95], s[14:15]
	v_fma_f64 v[107:108], v[48:49], s[10:11], v[107:108]
	v_add_f64 v[109:110], v[111:112], v[109:110]
	v_fma_f64 v[111:112], v[66:67], s[20:21], v[117:118]
	v_mul_f64 v[125:126], v[88:89], s[16:17]
	v_fma_f64 v[113:114], v[52:53], s[6:7], -v[113:114]
	v_add_f64 v[103:104], v[115:116], v[103:104]
	v_add_f64 v[115:116], v[34:35], v[121:122]
	v_fma_f64 v[121:122], v[58:59], s[24:25], v[123:124]
	v_mul_f64 v[133:134], v[90:91], s[0:1]
	v_add_f64 v[107:108], v[107:108], v[119:120]
	v_add_f64 v[111:112], v[32:33], v[111:112]
	v_fma_f64 v[119:120], v[60:61], s[14:15], v[125:126]
	v_mul_f64 v[135:136], v[84:85], s[4:5]
	v_add_f64 v[113:114], v[113:114], v[109:110]
	v_fma_f64 v[109:110], v[42:43], s[16:17], v[127:128]
	v_add_f64 v[115:116], v[121:122], v[115:116]
	v_fma_f64 v[121:122], v[54:55], s[12:13], v[133:134]
	v_mul_f64 v[127:128], v[86:87], s[26:27]
	v_mul_f64 v[137:138], v[76:77], s[30:31]
	v_add_f64 v[111:112], v[119:120], v[111:112]
	v_fma_f64 v[119:120], v[64:65], s[22:23], v[131:132]
	v_fma_f64 v[131:132], v[56:57], s[0:1], v[135:136]
	v_add_f64 v[82:83], v[34:35], v[82:83]
	v_add_f64 v[80:81], v[32:33], v[80:81]
	;; [unrolled: 1-line block ×4, first 2 shown]
	v_fma_f64 v[115:116], v[48:49], s[28:29], v[127:128]
	v_fma_f64 v[121:122], v[58:59], s[16:17], v[123:124]
	v_add_f64 v[119:120], v[34:35], v[119:120]
	v_add_f64 v[111:112], v[131:132], v[111:112]
	v_fma_f64 v[123:124], v[52:53], s[26:27], v[137:138]
	v_mul_f64 v[131:132], v[68:69], s[6:7]
	v_fma_f64 v[117:118], v[66:67], s[20:21], -v[117:118]
	v_add_f64 v[78:79], v[78:79], v[82:83]
	v_add_f64 v[74:75], v[74:75], v[80:81]
	v_fma_f64 v[129:130], v[50:51], s[14:15], -v[129:130]
	v_add_f64 v[115:116], v[115:116], v[107:108]
	v_add_f64 v[119:120], v[121:122], v[119:120]
	v_fma_f64 v[121:122], v[54:55], s[4:5], v[133:134]
	v_add_f64 v[111:112], v[123:124], v[111:112]
	v_fma_f64 v[123:124], v[42:43], s[10:11], v[131:132]
	v_mul_f64 v[133:134], v[96:97], s[6:7]
	v_mul_f64 v[139:140], v[62:63], s[18:19]
	v_fma_f64 v[125:126], v[60:61], s[14:15], -v[125:126]
	v_add_f64 v[117:118], v[32:33], v[117:118]
	v_add_f64 v[78:79], v[72:73], v[78:79]
	v_add_f64 v[70:71], v[70:71], v[74:75]
	v_add_f64 v[107:108], v[129:130], v[113:114]
	v_add_f64 v[113:114], v[121:122], v[119:120]
	v_fma_f64 v[119:120], v[48:49], s[30:31], v[127:128]
	v_add_f64 v[96:97], v[123:124], v[115:116]
	v_fma_f64 v[115:116], v[64:65], s[18:19], v[133:134]
	v_mul_f64 v[121:122], v[94:95], s[20:21]
	v_fma_f64 v[141:142], v[50:51], s[6:7], v[139:140]
	v_add_f64 v[117:118], v[125:126], v[117:118]
	v_fma_f64 v[125:126], v[56:57], s[0:1], -v[135:136]
	v_mul_f64 v[92:93], v[92:93], s[10:11]
	v_add_f64 v[46:47], v[46:47], v[78:79]
	v_add_f64 v[44:45], v[44:45], v[70:71]
	;; [unrolled: 1-line block ×4, first 2 shown]
	v_fma_f64 v[119:120], v[58:59], s[34:35], v[121:122]
	v_mul_f64 v[90:91], v[90:91], s[26:27]
	v_fma_f64 v[64:65], v[64:65], s[10:11], v[133:134]
	v_add_f64 v[94:95], v[141:142], v[111:112]
	v_add_f64 v[111:112], v[125:126], v[117:118]
	v_fma_f64 v[117:118], v[52:53], s[26:27], -v[137:138]
	v_fma_f64 v[123:124], v[66:67], s[6:7], v[92:93]
	v_mul_f64 v[88:89], v[88:89], s[22:23]
	v_fma_f64 v[66:67], v[66:67], s[6:7], -v[92:93]
	v_add_f64 v[40:41], v[40:41], v[46:47]
	v_add_f64 v[38:39], v[38:39], v[44:45]
	v_add_f64 v[115:116], v[119:120], v[115:116]
	v_fma_f64 v[80:81], v[54:55], s[30:31], v[90:91]
	v_mul_f64 v[86:87], v[86:87], s[14:15]
	v_fma_f64 v[44:45], v[58:59], s[22:23], v[121:122]
	v_add_f64 v[34:35], v[34:35], v[64:65]
	v_add_f64 v[111:112], v[117:118], v[111:112]
	v_fma_f64 v[82:83], v[42:43], s[18:19], v[131:132]
	v_add_f64 v[117:118], v[32:33], v[123:124]
	v_fma_f64 v[119:120], v[60:61], s[20:21], v[88:89]
	v_mul_f64 v[84:85], v[84:85], s[28:29]
	v_fma_f64 v[58:59], v[60:61], s[20:21], -v[88:89]
	v_add_f64 v[32:33], v[32:33], v[66:67]
	v_add_f64 v[30:31], v[30:31], v[40:41]
	v_add_f64 v[26:27], v[26:27], v[38:39]
	v_add_f64 v[74:75], v[80:81], v[115:116]
	v_fma_f64 v[80:81], v[48:49], s[24:25], v[86:87]
	v_mul_f64 v[40:41], v[68:69], s[0:1]
	v_fma_f64 v[38:39], v[54:55], s[28:29], v[90:91]
	v_add_f64 v[34:35], v[44:45], v[34:35]
	v_add_f64 v[72:73], v[82:83], v[113:114]
	;; [unrolled: 1-line block ×3, first 2 shown]
	v_fma_f64 v[78:79], v[56:57], s[26:27], v[84:85]
	v_mul_f64 v[76:77], v[76:77], s[16:17]
	v_fma_f64 v[44:45], v[56:57], s[26:27], -v[84:85]
	v_add_f64 v[32:33], v[58:59], v[32:33]
	v_add_f64 v[22:23], v[22:23], v[30:31]
	;; [unrolled: 1-line block ×4, first 2 shown]
	v_fma_f64 v[30:31], v[42:43], s[4:5], v[40:41]
	v_fma_f64 v[48:49], v[48:49], s[16:17], v[86:87]
	v_add_f64 v[34:35], v[38:39], v[34:35]
	v_add_f64 v[46:47], v[78:79], v[82:83]
	v_fma_f64 v[78:79], v[52:53], s[14:15], v[76:77]
	v_mul_f64 v[54:55], v[62:63], s[12:13]
	v_fma_f64 v[38:39], v[52:53], s[14:15], -v[76:77]
	v_add_f64 v[32:33], v[44:45], v[32:33]
	v_add_f64 v[22:23], v[28:29], v[22:23]
	;; [unrolled: 1-line block ×4, first 2 shown]
	v_fma_f64 v[26:27], v[42:43], s[12:13], v[40:41]
	v_add_f64 v[30:31], v[48:49], v[34:35]
	v_add_f64 v[46:47], v[78:79], v[46:47]
	v_fma_f64 v[28:29], v[50:51], s[0:1], v[54:55]
	v_fma_f64 v[34:35], v[50:51], s[0:1], -v[54:55]
	v_mad_u64_u32 v[40:41], s[0:1], s8, v98, 0
	v_add_f64 v[32:33], v[38:39], v[32:33]
	v_add_f64 v[38:39], v[18:19], v[22:23]
	;; [unrolled: 1-line block ×3, first 2 shown]
	v_mov_b32_e32 v16, v41
	v_add_f64 v[24:25], v[26:27], v[30:31]
	v_mad_u64_u32 v[26:27], s[0:1], s9, v98, v[16:17]
	v_add_f64 v[18:19], v[28:29], v[46:47]
	v_add_u32_e32 v28, 5, v98
	v_mov_b32_e32 v41, v26
	v_mad_u64_u32 v[26:27], s[0:1], s8, v28, 0
	v_add_f64 v[16:17], v[12:13], v[38:39]
	v_add_f64 v[14:15], v[14:15], v[42:43]
	;; [unrolled: 1-line block ×3, first 2 shown]
	v_mov_b32_e32 v12, s3
	v_add_co_u32_e32 v30, vcc, s2, v36
	v_mad_u64_u32 v[27:28], s[0:1], s9, v28, v[27:28]
	v_add_u32_e32 v32, 10, v98
	v_addc_co_u32_e32 v31, vcc, v12, v37, vcc
	v_lshlrev_b64 v[12:13], 4, v[40:41]
	v_mad_u64_u32 v[28:29], s[0:1], s8, v32, 0
	v_fma_f64 v[123:124], v[50:51], s[6:7], -v[139:140]
	v_add_co_u32_e32 v12, vcc, v30, v12
	v_addc_co_u32_e32 v13, vcc, v31, v13, vcc
	global_store_dwordx4 v[12:13], v[14:17], off
	v_lshlrev_b64 v[12:13], 4, v[26:27]
	v_mov_b32_e32 v14, v29
	v_mad_u64_u32 v[14:15], s[0:1], s9, v32, v[14:15]
	v_add_u32_e32 v16, 15, v98
	v_add_f64 v[70:71], v[123:124], v[111:112]
	v_mov_b32_e32 v29, v14
	v_mad_u64_u32 v[14:15], s[0:1], s8, v16, 0
	v_add_co_u32_e32 v12, vcc, v30, v12
	v_addc_co_u32_e32 v13, vcc, v31, v13, vcc
	global_store_dwordx4 v[12:13], v[22:25], off
	v_mad_u64_u32 v[15:16], s[0:1], s9, v16, v[15:16]
	v_add_u32_e32 v22, 20, v98
	v_lshlrev_b64 v[12:13], 4, v[28:29]
	v_mad_u64_u32 v[16:17], s[0:1], s8, v22, 0
	v_add_co_u32_e32 v12, vcc, v30, v12
	v_addc_co_u32_e32 v13, vcc, v31, v13, vcc
	global_store_dwordx4 v[12:13], v[70:73], off
	v_lshlrev_b64 v[12:13], 4, v[14:15]
	v_mov_b32_e32 v14, v17
	v_mad_u64_u32 v[14:15], s[0:1], s9, v22, v[14:15]
	v_add_co_u32_e32 v12, vcc, v30, v12
	v_addc_co_u32_e32 v13, vcc, v31, v13, vcc
	v_mov_b32_e32 v17, v14
	global_store_dwordx4 v[12:13], v[107:110], off
	v_lshlrev_b64 v[12:13], 4, v[16:17]
	v_add_u32_e32 v16, 25, v98
	v_mad_u64_u32 v[14:15], s[0:1], s8, v16, 0
	v_add_co_u32_e32 v12, vcc, v30, v12
	v_mad_u64_u32 v[15:16], s[0:1], s9, v16, v[15:16]
	v_addc_co_u32_e32 v13, vcc, v31, v13, vcc
	v_add_u32_e32 v22, 30, v98
	v_mad_u64_u32 v[16:17], s[0:1], s8, v22, 0
	global_store_dwordx4 v[12:13], v[99:102], off
	v_lshlrev_b64 v[12:13], 4, v[14:15]
	v_mov_b32_e32 v14, v17
	v_add_co_u32_e32 v12, vcc, v30, v12
	v_addc_co_u32_e32 v13, vcc, v31, v13, vcc
	global_store_dwordx4 v[12:13], v[4:7], off
	v_add_u32_e32 v12, 35, v98
	v_mad_u64_u32 v[14:15], s[0:1], s9, v22, v[14:15]
	v_mad_u64_u32 v[6:7], s[0:1], s8, v12, 0
	v_mov_b32_e32 v17, v14
	v_or_b32_e32 v15, 40, v98
	v_mad_u64_u32 v[12:13], s[0:1], s9, v12, v[7:8]
	v_lshlrev_b64 v[4:5], 4, v[16:17]
	v_mad_u64_u32 v[13:14], s[0:1], s8, v15, 0
	v_add_co_u32_e32 v4, vcc, v30, v4
	v_addc_co_u32_e32 v5, vcc, v31, v5, vcc
	global_store_dwordx4 v[4:5], v[0:3], off
	v_add_u32_e32 v4, 45, v98
	v_mov_b32_e32 v2, v14
	v_mad_u64_u32 v[2:3], s[0:1], s9, v15, v[2:3]
	v_mov_b32_e32 v7, v12
	v_lshlrev_b64 v[0:1], 4, v[6:7]
	v_mov_b32_e32 v14, v2
	v_mad_u64_u32 v[2:3], s[0:1], s8, v4, 0
	v_add_co_u32_e32 v0, vcc, v30, v0
	v_addc_co_u32_e32 v1, vcc, v31, v1, vcc
	v_mad_u64_u32 v[3:4], s[0:1], s9, v4, v[3:4]
	v_add_u32_e32 v6, 50, v98
	global_store_dwordx4 v[0:1], v[8:11], off
	v_lshlrev_b64 v[0:1], 4, v[13:14]
	v_mad_u64_u32 v[4:5], s[0:1], s8, v6, 0
	v_add_co_u32_e32 v0, vcc, v30, v0
	v_addc_co_u32_e32 v1, vcc, v31, v1, vcc
	global_store_dwordx4 v[0:1], v[103:106], off
	v_lshlrev_b64 v[0:1], 4, v[2:3]
	v_mov_b32_e32 v2, v5
	v_mad_u64_u32 v[2:3], s[0:1], s9, v6, v[2:3]
	v_add_co_u32_e32 v0, vcc, v30, v0
	v_addc_co_u32_e32 v1, vcc, v31, v1, vcc
	v_mov_b32_e32 v5, v2
	global_store_dwordx4 v[0:1], v[94:97], off
	v_lshlrev_b64 v[0:1], 4, v[4:5]
	v_add_co_u32_e32 v0, vcc, v30, v0
	v_addc_co_u32_e32 v1, vcc, v31, v1, vcc
	global_store_dwordx4 v[0:1], v[18:21], off
	s_endpgm
	.section	.rodata,"a",@progbits
	.p2align	6, 0x0
	.amdhsa_kernel fft_rtc_fwd_len55_factors_5_11_wgs_132_tpt_11_halfLds_dim1_dp_ip_CI_sbrr_dirReg
		.amdhsa_group_segment_fixed_size 0
		.amdhsa_private_segment_fixed_size 0
		.amdhsa_kernarg_size 80
		.amdhsa_user_sgpr_count 6
		.amdhsa_user_sgpr_private_segment_buffer 1
		.amdhsa_user_sgpr_dispatch_ptr 0
		.amdhsa_user_sgpr_queue_ptr 0
		.amdhsa_user_sgpr_kernarg_segment_ptr 1
		.amdhsa_user_sgpr_dispatch_id 0
		.amdhsa_user_sgpr_flat_scratch_init 0
		.amdhsa_user_sgpr_private_segment_size 0
		.amdhsa_uses_dynamic_stack 0
		.amdhsa_system_sgpr_private_segment_wavefront_offset 0
		.amdhsa_system_sgpr_workgroup_id_x 1
		.amdhsa_system_sgpr_workgroup_id_y 0
		.amdhsa_system_sgpr_workgroup_id_z 0
		.amdhsa_system_sgpr_workgroup_info 0
		.amdhsa_system_vgpr_workitem_id 0
		.amdhsa_next_free_vgpr 143
		.amdhsa_next_free_sgpr 36
		.amdhsa_reserve_vcc 1
		.amdhsa_reserve_flat_scratch 0
		.amdhsa_float_round_mode_32 0
		.amdhsa_float_round_mode_16_64 0
		.amdhsa_float_denorm_mode_32 3
		.amdhsa_float_denorm_mode_16_64 3
		.amdhsa_dx10_clamp 1
		.amdhsa_ieee_mode 1
		.amdhsa_fp16_overflow 0
		.amdhsa_exception_fp_ieee_invalid_op 0
		.amdhsa_exception_fp_denorm_src 0
		.amdhsa_exception_fp_ieee_div_zero 0
		.amdhsa_exception_fp_ieee_overflow 0
		.amdhsa_exception_fp_ieee_underflow 0
		.amdhsa_exception_fp_ieee_inexact 0
		.amdhsa_exception_int_div_zero 0
	.end_amdhsa_kernel
	.text
.Lfunc_end0:
	.size	fft_rtc_fwd_len55_factors_5_11_wgs_132_tpt_11_halfLds_dim1_dp_ip_CI_sbrr_dirReg, .Lfunc_end0-fft_rtc_fwd_len55_factors_5_11_wgs_132_tpt_11_halfLds_dim1_dp_ip_CI_sbrr_dirReg
                                        ; -- End function
	.section	.AMDGPU.csdata,"",@progbits
; Kernel info:
; codeLenInByte = 4876
; NumSgprs: 40
; NumVgprs: 143
; ScratchSize: 0
; MemoryBound: 1
; FloatMode: 240
; IeeeMode: 1
; LDSByteSize: 0 bytes/workgroup (compile time only)
; SGPRBlocks: 4
; VGPRBlocks: 35
; NumSGPRsForWavesPerEU: 40
; NumVGPRsForWavesPerEU: 143
; Occupancy: 1
; WaveLimiterHint : 1
; COMPUTE_PGM_RSRC2:SCRATCH_EN: 0
; COMPUTE_PGM_RSRC2:USER_SGPR: 6
; COMPUTE_PGM_RSRC2:TRAP_HANDLER: 0
; COMPUTE_PGM_RSRC2:TGID_X_EN: 1
; COMPUTE_PGM_RSRC2:TGID_Y_EN: 0
; COMPUTE_PGM_RSRC2:TGID_Z_EN: 0
; COMPUTE_PGM_RSRC2:TIDIG_COMP_CNT: 0
	.type	__hip_cuid_174a484758e80775,@object ; @__hip_cuid_174a484758e80775
	.section	.bss,"aw",@nobits
	.globl	__hip_cuid_174a484758e80775
__hip_cuid_174a484758e80775:
	.byte	0                               ; 0x0
	.size	__hip_cuid_174a484758e80775, 1

	.ident	"AMD clang version 19.0.0git (https://github.com/RadeonOpenCompute/llvm-project roc-6.4.0 25133 c7fe45cf4b819c5991fe208aaa96edf142730f1d)"
	.section	".note.GNU-stack","",@progbits
	.addrsig
	.addrsig_sym __hip_cuid_174a484758e80775
	.amdgpu_metadata
---
amdhsa.kernels:
  - .args:
      - .actual_access:  read_only
        .address_space:  global
        .offset:         0
        .size:           8
        .value_kind:     global_buffer
      - .actual_access:  read_only
        .address_space:  global
        .offset:         8
        .size:           8
        .value_kind:     global_buffer
      - .actual_access:  read_only
        .address_space:  global
        .offset:         16
        .size:           8
        .value_kind:     global_buffer
      - .offset:         24
        .size:           8
        .value_kind:     by_value
      - .actual_access:  read_only
        .address_space:  global
        .offset:         32
        .size:           8
        .value_kind:     global_buffer
      - .actual_access:  read_only
        .address_space:  global
        .offset:         40
        .size:           8
        .value_kind:     global_buffer
      - .offset:         48
        .size:           4
        .value_kind:     by_value
      - .actual_access:  read_only
        .address_space:  global
        .offset:         56
        .size:           8
        .value_kind:     global_buffer
      - .actual_access:  read_only
        .address_space:  global
        .offset:         64
        .size:           8
        .value_kind:     global_buffer
      - .address_space:  global
        .offset:         72
        .size:           8
        .value_kind:     global_buffer
    .group_segment_fixed_size: 0
    .kernarg_segment_align: 8
    .kernarg_segment_size: 80
    .language:       OpenCL C
    .language_version:
      - 2
      - 0
    .max_flat_workgroup_size: 132
    .name:           fft_rtc_fwd_len55_factors_5_11_wgs_132_tpt_11_halfLds_dim1_dp_ip_CI_sbrr_dirReg
    .private_segment_fixed_size: 0
    .sgpr_count:     40
    .sgpr_spill_count: 0
    .symbol:         fft_rtc_fwd_len55_factors_5_11_wgs_132_tpt_11_halfLds_dim1_dp_ip_CI_sbrr_dirReg.kd
    .uniform_work_group_size: 1
    .uses_dynamic_stack: false
    .vgpr_count:     143
    .vgpr_spill_count: 0
    .wavefront_size: 64
amdhsa.target:   amdgcn-amd-amdhsa--gfx906
amdhsa.version:
  - 1
  - 2
...

	.end_amdgpu_metadata
